;; amdgpu-corpus repo=ROCm/aiter kind=harvested arch=n/a opt=n/a

/root/src/amdgpu-assembly/repos/ROCm__aiter/hsa/gfx942/topksoftmax/topksoftmax_4x128x8.co:	file format elf64-amdgpu

Disassembly of section .text:

0000000000001c00 <_ZN5aiter19topksoftmax_4x128x8E>:
	s_and_b32 s1, s1, 0xffff                                   // 000000001C00: 8601FF01 0000FFFF
	s_load_dwordx2 s[4:5], s[0:1], 0x0                         // 000000001C08: C0060100 00000000
	s_load_dwordx2 s[8:9], s[0:1], 0x10                        // 000000001C10: C0060200 00000010
	s_load_dwordx2 s[12:13], s[0:1], 0x20                      // 000000001C18: C0060300 00000020
	s_load_dword s16, s[0:1], 0x30                             // 000000001C20: C0020400 00000030
	s_load_dword s17, s[0:1], 0x40                             // 000000001C28: C0020440 00000040
	s_load_dword s18, s[0:1], 0x50                             // 000000001C30: C0020480 00000050
	s_load_dword s50, s[0:1], 0x60                             // 000000001C38: C0020C80 00000060
	s_load_dword s51, s[0:1], 0x70                             // 000000001C40: C0020CC0 00000070
	v_lshrrev_b32_e32 v1, 10, v0                               // 000000001C48: 2002008A
	v_lshrrev_b32_e32 v2, 10, v1                               // 000000001C4C: 2004028A
	v_and_b32_e32 v2, 0x3ff, v2                                // 000000001C50: 260404FF 000003FF
	v_and_b32_e32 v1, 0x3ff, v1                                // 000000001C58: 260202FF 000003FF
	v_and_b32_e32 v0, 0x3ff, v0                                // 000000001C60: 260000FF 000003FF
	v_lshrrev_b32_e32 v3, 6, v0                                // 000000001C68: 20060086
	v_and_b32_e32 v0, 63, v0                                   // 000000001C6C: 260000BF
	s_mov_b32 s19, s2                                          // 000000001C70: BE930002
	v_readfirstlane_b32 s48, v3                                // 000000001C74: 7E600503
	s_waitcnt lgkmcnt(0)                                       // 000000001C78: BF8CC07F
	s_mov_b32 s6, -16                                          // 000000001C7C: BE8600D0
	s_mov_b32 s10, -16                                         // 000000001C80: BE8A00D0
	s_mov_b32 s14, -16                                         // 000000001C84: BE8E00D0
	s_mov_b32 s7, 0x20000                                      // 000000001C88: BE8700FF 00020000
	s_mov_b32 s11, 0x20000                                     // 000000001C90: BE8B00FF 00020000
	s_mov_b32 s15, 0x20000                                     // 000000001C98: BE8F00FF 00020000
	s_and_b32 s5, s5, 0xffff                                   // 000000001CA0: 8605FF05 0000FFFF
	s_and_b32 s9, s9, 0xffff                                   // 000000001CA8: 8609FF09 0000FFFF
	s_and_b32 s13, s13, 0xffff                                 // 000000001CB0: 860DFF0D 0000FFFF
	s_or_b32 s5, s5, 0x40000                                   // 000000001CB8: 8705FF05 00040000
	s_or_b32 s9, s9, 0x40000                                   // 000000001CC0: 8709FF09 00040000
	s_or_b32 s13, s13, 0x40000                                 // 000000001CC8: 870DFF0D 00040000
	s_mul_i32 s20, s16, s17                                    // 000000001CD0: 92141110
	s_mul_i32 s20, s20, 4                                      // 000000001CD4: 92148414
	s_mov_b32 s14, s20                                         // 000000001CD8: BE8E0014
	v_lshlrev_b32_e32 v8, 2, v0                                // 000000001CDC: 24100082
	s_mul_i32 s20, s17, 4                                      // 000000001CE0: 92148411
	s_mul_i32 s21, s19, 4                                      // 000000001CE4: 92158413
	s_add_i32 s21, s21, s48                                    // 000000001CE8: 81153015
	s_mul_i32 s20, s20, s21                                    // 000000001CEC: 92141514
	v_add_u32_e32 v8, s20, v8                                  // 000000001CF0: 68101014
	buffer_load_dword v11, v8, s[12:15], 0 offen               // 000000001CF4: E0501000 80030B08
	buffer_load_dword v12, v8, s[12:15], 0 offen offset:256    // 000000001CFC: E0501100 80030C08
	v_mov_b32_e32 v15, 0                                       // 000000001D04: 7E1E0280
	v_mov_b32_e32 v16, 0                                       // 000000001D08: 7E200280
	v_mov_b32_e32 v17, 0                                       // 000000001D0C: 7E220280
	v_mov_b32_e32 v18, 0                                       // 000000001D10: 7E240280
	v_mov_b32_e32 v13, 0                                       // 000000001D14: 7E1A0280
	v_mov_b32_e32 v14, 0                                       // 000000001D18: 7E1C0280
	v_mov_b32_e32 v19, 0                                       // 000000001D1C: 7E260280
	s_mov_b32 s18, 8                                           // 000000001D20: BE920088
	v_lshlrev_b32_e32 v9, 2, v0                                // 000000001D24: 24120082
	s_mov_b32 s20, s51                                         // 000000001D28: BE940033
	s_mul_i32 s21, s19, 4                                      // 000000001D2C: 92158413
	s_add_i32 s21, s21, s48                                    // 000000001D30: 81153015
	s_mul_i32 s20, s20, s21                                    // 000000001D34: 92141514
	v_add_u32_e32 v9, s20, v9                                  // 000000001D38: 68121214
	v_mov_b32_e32 v10, v9                                      // 000000001D3C: 7E140309
	s_mul_i32 s20, s16, s51                                    // 000000001D40: 92143310
	s_mov_b32 s6, s20                                          // 000000001D44: BE860014
	s_mov_b32 s10, s20                                         // 000000001D48: BE8A0014
	s_mov_b32 s49, 0x3fb8aa3b                                  // 000000001D4C: BEB100FF 3FB8AA3B
	s_mov_b32 s32, 0                                           // 000000001D54: BEA00080
	s_mov_b32 s40, 1                                           // 000000001D58: BEA80081
	s_mov_b32 s33, 0                                           // 000000001D5C: BEA10080
	s_mov_b32 s41, 1                                           // 000000001D60: BEA90081
	s_mov_b32 s34, 0                                           // 000000001D64: BEA20080
	s_mov_b32 s42, 1                                           // 000000001D68: BEAA0081
	s_mov_b32 s35, 0                                           // 000000001D6C: BEA30080
	s_mov_b32 s43, 1                                           // 000000001D70: BEAB0081
	s_mov_b32 s36, 0                                           // 000000001D74: BEA40080
	s_mov_b32 s44, 1                                           // 000000001D78: BEAC0081
	s_mov_b32 s37, 0                                           // 000000001D7C: BEA50080
	s_mov_b32 s45, 1                                           // 000000001D80: BEAD0081
	s_mov_b32 s38, 0                                           // 000000001D84: BEA60080
	s_mov_b32 s46, 1                                           // 000000001D88: BEAE0081
	s_mov_b32 s39, 0                                           // 000000001D8C: BEA70080
	s_mov_b32 s47, 1                                           // 000000001D90: BEAF0081
	s_waitcnt vmcnt(0) expcnt(0) lgkmcnt(0)                    // 000000001D94: BF8C0000
	v_mul_f32_e64 v11, v11, s49                                // 000000001D98: D105000B 0000630B
	v_exp_f32_e32 v11, v11                                     // 000000001DA0: 7E16410B
	v_mul_f32_e64 v12, v12, s49                                // 000000001DA4: D105000C 0000630C
	v_exp_f32_e32 v12, v12                                     // 000000001DAC: 7E18410C
	s_nop 0                                                    // 000000001DB0: BF800000
	v_add_f32_e32 v15, v15, v11                                // 000000001DB4: 021E170F
	v_add_f32_e32 v15, v15, v12                                // 000000001DB8: 021E190F
	s_nop 1                                                    // 000000001DBC: BF800001
	v_add_f32_dpp v4, v15, v15 quad_perm:[1,0,3,2] row_mask:0xf bank_mask:0xf// 000000001DC0: 02081EFA FF00B10F
	s_nop 1                                                    // 000000001DC8: BF800001
	v_add_f32_dpp v4, v4, v4 quad_perm:[2,3,0,1] row_mask:0xf bank_mask:0xf// 000000001DCC: 020808FA FF004E04
	s_nop 1                                                    // 000000001DD4: BF800001
	v_add_f32_dpp v4, v4, v4 row_shr:4 row_mask:0xf bank_mask:0xf// 000000001DD8: 020808FA FF011404
	s_nop 1                                                    // 000000001DE0: BF800001
	v_add_f32_dpp v4, v4, v4 row_shr:8 row_mask:0xf bank_mask:0xf// 000000001DE4: 020808FA FF011804
	s_nop 1                                                    // 000000001DEC: BF800001
	v_add_f32_dpp v4, v4, v4 row_bcast:15 row_mask:0xf bank_mask:0xf// 000000001DF0: 020808FA FF014204
	s_nop 1                                                    // 000000001DF8: BF800001
	v_add_f32_dpp v4, v4, v4 row_bcast:31 row_mask:0xf bank_mask:0xf// 000000001DFC: 020808FA FF014304
	s_nop 0                                                    // 000000001E04: BF800000
	v_readlane_b32 s20, v4, 63                                 // 000000001E08: D2890014 00017F04
	v_mov_b32_e32 v16, s20                                     // 000000001E10: 7E200214
	v_rcp_f32_e32 v15, v16                                     // 000000001E14: 7E1E4510
	s_nop 0                                                    // 000000001E18: BF800000
	v_mul_f32_e32 v11, v11, v15                                // 000000001E1C: 0A161F0B
	v_mul_f32_e32 v12, v12, v15                                // 000000001E20: 0A181F0C
	s_cmp_eq_u32 s50, 0                                        // 000000001E24: BF068032
	s_cbranch_scc0 label_0229                                  // 000000001E28: BF84019E
	v_max_f32_e32 v17, v11, v12                                // 000000001E2C: 1622190B
	s_nop 1                                                    // 000000001E30: BF800001
	v_max_f32_dpp v4, v17, v17 quad_perm:[1,0,3,2] row_mask:0xf bank_mask:0xf// 000000001E34: 160822FA FF00B111
	s_nop 1                                                    // 000000001E3C: BF800001
	v_max_f32_dpp v4, v4, v4 quad_perm:[2,3,0,1] row_mask:0xf bank_mask:0xf// 000000001E40: 160808FA FF004E04
	s_nop 1                                                    // 000000001E48: BF800001
	v_max_f32_dpp v4, v4, v4 row_shr:4 row_mask:0xf bank_mask:0xf// 000000001E4C: 160808FA FF011404
	s_nop 1                                                    // 000000001E54: BF800001
	v_max_f32_dpp v4, v4, v4 row_shr:8 row_mask:0xf bank_mask:0xf// 000000001E58: 160808FA FF011804
	s_nop 1                                                    // 000000001E60: BF800001
	v_max_f32_dpp v4, v4, v4 row_bcast:15 row_mask:0xf bank_mask:0xf// 000000001E64: 160808FA FF014204
	s_nop 1                                                    // 000000001E6C: BF800001
	v_max_f32_dpp v4, v4, v4 row_bcast:31 row_mask:0xf bank_mask:0xf// 000000001E70: 160808FA FF014304
	s_nop 0                                                    // 000000001E78: BF800000
	v_readlane_b32 s20, v4, 63                                 // 000000001E7C: D2890014 00017F04
	v_mov_b32_e32 v17, s20                                     // 000000001E84: 7E220214
	v_cmp_eq_f32_e64 s[24:25], v17, v11                        // 000000001E88: D0420018 00021711
	v_cmp_eq_f32_e64 s[26:27], v17, v12                        // 000000001E90: D042001A 00021911
	s_ff1_i32_b64 s28, s[24:25]                                // 000000001E98: BE9C1118
	s_ff1_i32_b64 s29, s[26:27]                                // 000000001E9C: BE9D111A
	v_readlane_b32 s20, v17, 0                                 // 000000001EA0: D2890014 00010111
	v_writelane_b32 v14, s20, 0                                // 000000001EA8: D28A000E 00010014
	s_mov_b32 s22, s28                                         // 000000001EB0: BE96001C
	s_cmp_eq_u32 s28, -1                                       // 000000001EB4: BF06C11C
	s_cselect_b32 s21, 1, 0                                    // 000000001EB8: 85158081
	s_cbranch_scc0 label_00B6                                  // 000000001EBC: BF840006
	s_add_u32 s32, s21, s32                                    // 000000001EC0: 80202015
	s_mov_b32 s22, s29                                         // 000000001EC4: BE96001D
	s_cmp_eq_u32 s29, -1                                       // 000000001EC8: BF06C11D
	s_cselect_b32 s21, 1, 0                                    // 000000001ECC: 85158081
	s_cbranch_scc0 label_00B6                                  // 000000001ED0: BF840001
	s_add_u32 s32, s21, s32                                    // 000000001ED4: 80202015

0000000000001ed8 <label_00B6>:
	s_set_gpr_idx_on s32, gpr_idx(DST)                         // 000000001ED8: BF110820
	v_writelane_b32 v11, 0, s22                                // 000000001EDC: D28A000B 00002C80
	s_set_gpr_idx_off                                          // 000000001EE4: BF9C0000
	s_mul_i32 s32, 64, s32                                     // 000000001EE8: 922020C0
	s_add_u32 s32, s22, s32                                    // 000000001EEC: 80202016
	v_writelane_b32 v13, s32, 0                                // 000000001EF0: D28A000D 00010020
	v_max_f32_e32 v17, v11, v12                                // 000000001EF8: 1622190B
	s_nop 1                                                    // 000000001EFC: BF800001
	v_max_f32_dpp v4, v17, v17 quad_perm:[1,0,3,2] row_mask:0xf bank_mask:0xf// 000000001F00: 160822FA FF00B111
	s_nop 1                                                    // 000000001F08: BF800001
	v_max_f32_dpp v4, v4, v4 quad_perm:[2,3,0,1] row_mask:0xf bank_mask:0xf// 000000001F0C: 160808FA FF004E04
	s_nop 1                                                    // 000000001F14: BF800001
	v_max_f32_dpp v4, v4, v4 row_shr:4 row_mask:0xf bank_mask:0xf// 000000001F18: 160808FA FF011404
	s_nop 1                                                    // 000000001F20: BF800001
	v_max_f32_dpp v4, v4, v4 row_shr:8 row_mask:0xf bank_mask:0xf// 000000001F24: 160808FA FF011804
	s_nop 1                                                    // 000000001F2C: BF800001
	v_max_f32_dpp v4, v4, v4 row_bcast:15 row_mask:0xf bank_mask:0xf// 000000001F30: 160808FA FF014204
	s_nop 1                                                    // 000000001F38: BF800001
	v_max_f32_dpp v4, v4, v4 row_bcast:31 row_mask:0xf bank_mask:0xf// 000000001F3C: 160808FA FF014304
	s_nop 0                                                    // 000000001F44: BF800000
	v_readlane_b32 s20, v4, 63                                 // 000000001F48: D2890014 00017F04
	v_mov_b32_e32 v17, s20                                     // 000000001F50: 7E220214
	v_cmp_eq_f32_e64 s[24:25], v17, v11                        // 000000001F54: D0420018 00021711
	v_cmp_eq_f32_e64 s[26:27], v17, v12                        // 000000001F5C: D042001A 00021911
	s_ff1_i32_b64 s28, s[24:25]                                // 000000001F64: BE9C1118
	s_ff1_i32_b64 s29, s[26:27]                                // 000000001F68: BE9D111A
	v_readlane_b32 s20, v17, 0                                 // 000000001F6C: D2890014 00010111
	v_writelane_b32 v14, s20, 1                                // 000000001F74: D28A000E 00010214
	s_mov_b32 s22, s28                                         // 000000001F7C: BE96001C
	s_cmp_eq_u32 s28, -1                                       // 000000001F80: BF06C11C
	s_cselect_b32 s21, 1, 0                                    // 000000001F84: 85158081
	s_cbranch_scc0 label_00E9                                  // 000000001F88: BF840006
	s_add_u32 s33, s21, s33                                    // 000000001F8C: 80212115
	s_mov_b32 s22, s29                                         // 000000001F90: BE96001D
	s_cmp_eq_u32 s29, -1                                       // 000000001F94: BF06C11D
	s_cselect_b32 s21, 1, 0                                    // 000000001F98: 85158081
	s_cbranch_scc0 label_00E9                                  // 000000001F9C: BF840001
	s_add_u32 s33, s21, s33                                    // 000000001FA0: 80212115

0000000000001fa4 <label_00E9>:
	s_set_gpr_idx_on s33, gpr_idx(DST)                         // 000000001FA4: BF110821
	v_writelane_b32 v11, 0, s22                                // 000000001FA8: D28A000B 00002C80
	s_set_gpr_idx_off                                          // 000000001FB0: BF9C0000
	s_mul_i32 s33, 64, s33                                     // 000000001FB4: 922121C0
	s_add_u32 s33, s22, s33                                    // 000000001FB8: 80212116
	v_writelane_b32 v13, s33, 1                                // 000000001FBC: D28A000D 00010221
	v_max_f32_e32 v17, v11, v12                                // 000000001FC4: 1622190B
	s_nop 1                                                    // 000000001FC8: BF800001
	v_max_f32_dpp v4, v17, v17 quad_perm:[1,0,3,2] row_mask:0xf bank_mask:0xf// 000000001FCC: 160822FA FF00B111
	s_nop 1                                                    // 000000001FD4: BF800001
	v_max_f32_dpp v4, v4, v4 quad_perm:[2,3,0,1] row_mask:0xf bank_mask:0xf// 000000001FD8: 160808FA FF004E04
	s_nop 1                                                    // 000000001FE0: BF800001
	v_max_f32_dpp v4, v4, v4 row_shr:4 row_mask:0xf bank_mask:0xf// 000000001FE4: 160808FA FF011404
	s_nop 1                                                    // 000000001FEC: BF800001
	v_max_f32_dpp v4, v4, v4 row_shr:8 row_mask:0xf bank_mask:0xf// 000000001FF0: 160808FA FF011804
	s_nop 1                                                    // 000000001FF8: BF800001
	v_max_f32_dpp v4, v4, v4 row_bcast:15 row_mask:0xf bank_mask:0xf// 000000001FFC: 160808FA FF014204
	s_nop 1                                                    // 000000002004: BF800001
	v_max_f32_dpp v4, v4, v4 row_bcast:31 row_mask:0xf bank_mask:0xf// 000000002008: 160808FA FF014304
	s_nop 0                                                    // 000000002010: BF800000
	v_readlane_b32 s20, v4, 63                                 // 000000002014: D2890014 00017F04
	v_mov_b32_e32 v17, s20                                     // 00000000201C: 7E220214
	v_cmp_eq_f32_e64 s[24:25], v17, v11                        // 000000002020: D0420018 00021711
	v_cmp_eq_f32_e64 s[26:27], v17, v12                        // 000000002028: D042001A 00021911
	s_ff1_i32_b64 s28, s[24:25]                                // 000000002030: BE9C1118
	s_ff1_i32_b64 s29, s[26:27]                                // 000000002034: BE9D111A
	v_readlane_b32 s20, v17, 0                                 // 000000002038: D2890014 00010111
	v_writelane_b32 v14, s20, 2                                // 000000002040: D28A000E 00010414
	s_mov_b32 s22, s28                                         // 000000002048: BE96001C
	s_cmp_eq_u32 s28, -1                                       // 00000000204C: BF06C11C
	s_cselect_b32 s21, 1, 0                                    // 000000002050: 85158081
	s_cbranch_scc0 label_011C                                  // 000000002054: BF840006
	s_add_u32 s34, s21, s34                                    // 000000002058: 80222215
	s_mov_b32 s22, s29                                         // 00000000205C: BE96001D
	s_cmp_eq_u32 s29, -1                                       // 000000002060: BF06C11D
	s_cselect_b32 s21, 1, 0                                    // 000000002064: 85158081
	s_cbranch_scc0 label_011C                                  // 000000002068: BF840001
	s_add_u32 s34, s21, s34                                    // 00000000206C: 80222215

0000000000002070 <label_011C>:
	s_set_gpr_idx_on s34, gpr_idx(DST)                         // 000000002070: BF110822
	v_writelane_b32 v11, 0, s22                                // 000000002074: D28A000B 00002C80
	s_set_gpr_idx_off                                          // 00000000207C: BF9C0000
	s_mul_i32 s34, 64, s34                                     // 000000002080: 922222C0
	s_add_u32 s34, s22, s34                                    // 000000002084: 80222216
	v_writelane_b32 v13, s34, 2                                // 000000002088: D28A000D 00010422
	v_max_f32_e32 v17, v11, v12                                // 000000002090: 1622190B
	s_nop 1                                                    // 000000002094: BF800001
	v_max_f32_dpp v4, v17, v17 quad_perm:[1,0,3,2] row_mask:0xf bank_mask:0xf// 000000002098: 160822FA FF00B111
	s_nop 1                                                    // 0000000020A0: BF800001
	v_max_f32_dpp v4, v4, v4 quad_perm:[2,3,0,1] row_mask:0xf bank_mask:0xf// 0000000020A4: 160808FA FF004E04
	s_nop 1                                                    // 0000000020AC: BF800001
	v_max_f32_dpp v4, v4, v4 row_shr:4 row_mask:0xf bank_mask:0xf// 0000000020B0: 160808FA FF011404
	s_nop 1                                                    // 0000000020B8: BF800001
	v_max_f32_dpp v4, v4, v4 row_shr:8 row_mask:0xf bank_mask:0xf// 0000000020BC: 160808FA FF011804
	s_nop 1                                                    // 0000000020C4: BF800001
	v_max_f32_dpp v4, v4, v4 row_bcast:15 row_mask:0xf bank_mask:0xf// 0000000020C8: 160808FA FF014204
	s_nop 1                                                    // 0000000020D0: BF800001
	v_max_f32_dpp v4, v4, v4 row_bcast:31 row_mask:0xf bank_mask:0xf// 0000000020D4: 160808FA FF014304
	s_nop 0                                                    // 0000000020DC: BF800000
	v_readlane_b32 s20, v4, 63                                 // 0000000020E0: D2890014 00017F04
	v_mov_b32_e32 v17, s20                                     // 0000000020E8: 7E220214
	v_cmp_eq_f32_e64 s[24:25], v17, v11                        // 0000000020EC: D0420018 00021711
	v_cmp_eq_f32_e64 s[26:27], v17, v12                        // 0000000020F4: D042001A 00021911
	s_ff1_i32_b64 s28, s[24:25]                                // 0000000020FC: BE9C1118
	s_ff1_i32_b64 s29, s[26:27]                                // 000000002100: BE9D111A
	v_readlane_b32 s20, v17, 0                                 // 000000002104: D2890014 00010111
	v_writelane_b32 v14, s20, 3                                // 00000000210C: D28A000E 00010614
	s_mov_b32 s22, s28                                         // 000000002114: BE96001C
	s_cmp_eq_u32 s28, -1                                       // 000000002118: BF06C11C
	s_cselect_b32 s21, 1, 0                                    // 00000000211C: 85158081
	s_cbranch_scc0 label_014F                                  // 000000002120: BF840006
	s_add_u32 s35, s21, s35                                    // 000000002124: 80232315
	s_mov_b32 s22, s29                                         // 000000002128: BE96001D
	s_cmp_eq_u32 s29, -1                                       // 00000000212C: BF06C11D
	s_cselect_b32 s21, 1, 0                                    // 000000002130: 85158081
	s_cbranch_scc0 label_014F                                  // 000000002134: BF840001
	s_add_u32 s35, s21, s35                                    // 000000002138: 80232315

000000000000213c <label_014F>:
	s_set_gpr_idx_on s35, gpr_idx(DST)                         // 00000000213C: BF110823
	v_writelane_b32 v11, 0, s22                                // 000000002140: D28A000B 00002C80
	s_set_gpr_idx_off                                          // 000000002148: BF9C0000
	s_mul_i32 s35, 64, s35                                     // 00000000214C: 922323C0
	s_add_u32 s35, s22, s35                                    // 000000002150: 80232316
	v_writelane_b32 v13, s35, 3                                // 000000002154: D28A000D 00010623
	v_max_f32_e32 v17, v11, v12                                // 00000000215C: 1622190B
	s_nop 1                                                    // 000000002160: BF800001
	v_max_f32_dpp v4, v17, v17 quad_perm:[1,0,3,2] row_mask:0xf bank_mask:0xf// 000000002164: 160822FA FF00B111
	s_nop 1                                                    // 00000000216C: BF800001
	v_max_f32_dpp v4, v4, v4 quad_perm:[2,3,0,1] row_mask:0xf bank_mask:0xf// 000000002170: 160808FA FF004E04
	s_nop 1                                                    // 000000002178: BF800001
	v_max_f32_dpp v4, v4, v4 row_shr:4 row_mask:0xf bank_mask:0xf// 00000000217C: 160808FA FF011404
	s_nop 1                                                    // 000000002184: BF800001
	v_max_f32_dpp v4, v4, v4 row_shr:8 row_mask:0xf bank_mask:0xf// 000000002188: 160808FA FF011804
	s_nop 1                                                    // 000000002190: BF800001
	v_max_f32_dpp v4, v4, v4 row_bcast:15 row_mask:0xf bank_mask:0xf// 000000002194: 160808FA FF014204
	s_nop 1                                                    // 00000000219C: BF800001
	v_max_f32_dpp v4, v4, v4 row_bcast:31 row_mask:0xf bank_mask:0xf// 0000000021A0: 160808FA FF014304
	s_nop 0                                                    // 0000000021A8: BF800000
	v_readlane_b32 s20, v4, 63                                 // 0000000021AC: D2890014 00017F04
	v_mov_b32_e32 v17, s20                                     // 0000000021B4: 7E220214
	v_cmp_eq_f32_e64 s[24:25], v17, v11                        // 0000000021B8: D0420018 00021711
	v_cmp_eq_f32_e64 s[26:27], v17, v12                        // 0000000021C0: D042001A 00021911
	s_ff1_i32_b64 s28, s[24:25]                                // 0000000021C8: BE9C1118
	s_ff1_i32_b64 s29, s[26:27]                                // 0000000021CC: BE9D111A
	v_readlane_b32 s20, v17, 0                                 // 0000000021D0: D2890014 00010111
	v_writelane_b32 v14, s20, 4                                // 0000000021D8: D28A000E 00010814
	s_mov_b32 s22, s28                                         // 0000000021E0: BE96001C
	s_cmp_eq_u32 s28, -1                                       // 0000000021E4: BF06C11C
	s_cselect_b32 s21, 1, 0                                    // 0000000021E8: 85158081
	s_cbranch_scc0 label_0182                                  // 0000000021EC: BF840006
	s_add_u32 s36, s21, s36                                    // 0000000021F0: 80242415
	s_mov_b32 s22, s29                                         // 0000000021F4: BE96001D
	s_cmp_eq_u32 s29, -1                                       // 0000000021F8: BF06C11D
	s_cselect_b32 s21, 1, 0                                    // 0000000021FC: 85158081
	s_cbranch_scc0 label_0182                                  // 000000002200: BF840001
	s_add_u32 s36, s21, s36                                    // 000000002204: 80242415

0000000000002208 <label_0182>:
	s_set_gpr_idx_on s36, gpr_idx(DST)                         // 000000002208: BF110824
	v_writelane_b32 v11, 0, s22                                // 00000000220C: D28A000B 00002C80
	s_set_gpr_idx_off                                          // 000000002214: BF9C0000
	s_mul_i32 s36, 64, s36                                     // 000000002218: 922424C0
	s_add_u32 s36, s22, s36                                    // 00000000221C: 80242416
	v_writelane_b32 v13, s36, 4                                // 000000002220: D28A000D 00010824
	v_max_f32_e32 v17, v11, v12                                // 000000002228: 1622190B
	s_nop 1                                                    // 00000000222C: BF800001
	v_max_f32_dpp v4, v17, v17 quad_perm:[1,0,3,2] row_mask:0xf bank_mask:0xf// 000000002230: 160822FA FF00B111
	s_nop 1                                                    // 000000002238: BF800001
	v_max_f32_dpp v4, v4, v4 quad_perm:[2,3,0,1] row_mask:0xf bank_mask:0xf// 00000000223C: 160808FA FF004E04
	s_nop 1                                                    // 000000002244: BF800001
	v_max_f32_dpp v4, v4, v4 row_shr:4 row_mask:0xf bank_mask:0xf// 000000002248: 160808FA FF011404
	s_nop 1                                                    // 000000002250: BF800001
	v_max_f32_dpp v4, v4, v4 row_shr:8 row_mask:0xf bank_mask:0xf// 000000002254: 160808FA FF011804
	s_nop 1                                                    // 00000000225C: BF800001
	v_max_f32_dpp v4, v4, v4 row_bcast:15 row_mask:0xf bank_mask:0xf// 000000002260: 160808FA FF014204
	s_nop 1                                                    // 000000002268: BF800001
	v_max_f32_dpp v4, v4, v4 row_bcast:31 row_mask:0xf bank_mask:0xf// 00000000226C: 160808FA FF014304
	s_nop 0                                                    // 000000002274: BF800000
	v_readlane_b32 s20, v4, 63                                 // 000000002278: D2890014 00017F04
	v_mov_b32_e32 v17, s20                                     // 000000002280: 7E220214
	v_cmp_eq_f32_e64 s[24:25], v17, v11                        // 000000002284: D0420018 00021711
	v_cmp_eq_f32_e64 s[26:27], v17, v12                        // 00000000228C: D042001A 00021911
	s_ff1_i32_b64 s28, s[24:25]                                // 000000002294: BE9C1118
	s_ff1_i32_b64 s29, s[26:27]                                // 000000002298: BE9D111A
	v_readlane_b32 s20, v17, 0                                 // 00000000229C: D2890014 00010111
	v_writelane_b32 v14, s20, 5                                // 0000000022A4: D28A000E 00010A14
	s_mov_b32 s22, s28                                         // 0000000022AC: BE96001C
	s_cmp_eq_u32 s28, -1                                       // 0000000022B0: BF06C11C
	s_cselect_b32 s21, 1, 0                                    // 0000000022B4: 85158081
	s_cbranch_scc0 label_01B5                                  // 0000000022B8: BF840006
	s_add_u32 s37, s21, s37                                    // 0000000022BC: 80252515
	s_mov_b32 s22, s29                                         // 0000000022C0: BE96001D
	s_cmp_eq_u32 s29, -1                                       // 0000000022C4: BF06C11D
	s_cselect_b32 s21, 1, 0                                    // 0000000022C8: 85158081
	s_cbranch_scc0 label_01B5                                  // 0000000022CC: BF840001
	s_add_u32 s37, s21, s37                                    // 0000000022D0: 80252515

00000000000022d4 <label_01B5>:
	s_set_gpr_idx_on s37, gpr_idx(DST)                         // 0000000022D4: BF110825
	v_writelane_b32 v11, 0, s22                                // 0000000022D8: D28A000B 00002C80
	s_set_gpr_idx_off                                          // 0000000022E0: BF9C0000
	s_mul_i32 s37, 64, s37                                     // 0000000022E4: 922525C0
	s_add_u32 s37, s22, s37                                    // 0000000022E8: 80252516
	v_writelane_b32 v13, s37, 5                                // 0000000022EC: D28A000D 00010A25
	v_max_f32_e32 v17, v11, v12                                // 0000000022F4: 1622190B
	s_nop 1                                                    // 0000000022F8: BF800001
	v_max_f32_dpp v4, v17, v17 quad_perm:[1,0,3,2] row_mask:0xf bank_mask:0xf// 0000000022FC: 160822FA FF00B111
	s_nop 1                                                    // 000000002304: BF800001
	v_max_f32_dpp v4, v4, v4 quad_perm:[2,3,0,1] row_mask:0xf bank_mask:0xf// 000000002308: 160808FA FF004E04
	s_nop 1                                                    // 000000002310: BF800001
	v_max_f32_dpp v4, v4, v4 row_shr:4 row_mask:0xf bank_mask:0xf// 000000002314: 160808FA FF011404
	s_nop 1                                                    // 00000000231C: BF800001
	v_max_f32_dpp v4, v4, v4 row_shr:8 row_mask:0xf bank_mask:0xf// 000000002320: 160808FA FF011804
	s_nop 1                                                    // 000000002328: BF800001
	v_max_f32_dpp v4, v4, v4 row_bcast:15 row_mask:0xf bank_mask:0xf// 00000000232C: 160808FA FF014204
	s_nop 1                                                    // 000000002334: BF800001
	v_max_f32_dpp v4, v4, v4 row_bcast:31 row_mask:0xf bank_mask:0xf// 000000002338: 160808FA FF014304
	s_nop 0                                                    // 000000002340: BF800000
	v_readlane_b32 s20, v4, 63                                 // 000000002344: D2890014 00017F04
	v_mov_b32_e32 v17, s20                                     // 00000000234C: 7E220214
	v_cmp_eq_f32_e64 s[24:25], v17, v11                        // 000000002350: D0420018 00021711
	v_cmp_eq_f32_e64 s[26:27], v17, v12                        // 000000002358: D042001A 00021911
	s_ff1_i32_b64 s28, s[24:25]                                // 000000002360: BE9C1118
	s_ff1_i32_b64 s29, s[26:27]                                // 000000002364: BE9D111A
	v_readlane_b32 s20, v17, 0                                 // 000000002368: D2890014 00010111
	v_writelane_b32 v14, s20, 6                                // 000000002370: D28A000E 00010C14
	s_mov_b32 s22, s28                                         // 000000002378: BE96001C
	s_cmp_eq_u32 s28, -1                                       // 00000000237C: BF06C11C
	s_cselect_b32 s21, 1, 0                                    // 000000002380: 85158081
	s_cbranch_scc0 label_01E8                                  // 000000002384: BF840006
	s_add_u32 s38, s21, s38                                    // 000000002388: 80262615
	s_mov_b32 s22, s29                                         // 00000000238C: BE96001D
	s_cmp_eq_u32 s29, -1                                       // 000000002390: BF06C11D
	s_cselect_b32 s21, 1, 0                                    // 000000002394: 85158081
	s_cbranch_scc0 label_01E8                                  // 000000002398: BF840001
	s_add_u32 s38, s21, s38                                    // 00000000239C: 80262615

00000000000023a0 <label_01E8>:
	s_set_gpr_idx_on s38, gpr_idx(DST)                         // 0000000023A0: BF110826
	v_writelane_b32 v11, 0, s22                                // 0000000023A4: D28A000B 00002C80
	s_set_gpr_idx_off                                          // 0000000023AC: BF9C0000
	s_mul_i32 s38, 64, s38                                     // 0000000023B0: 922626C0
	s_add_u32 s38, s22, s38                                    // 0000000023B4: 80262616
	v_writelane_b32 v13, s38, 6                                // 0000000023B8: D28A000D 00010C26
	v_max_f32_e32 v17, v11, v12                                // 0000000023C0: 1622190B
	s_nop 1                                                    // 0000000023C4: BF800001
	v_max_f32_dpp v4, v17, v17 quad_perm:[1,0,3,2] row_mask:0xf bank_mask:0xf// 0000000023C8: 160822FA FF00B111
	s_nop 1                                                    // 0000000023D0: BF800001
	v_max_f32_dpp v4, v4, v4 quad_perm:[2,3,0,1] row_mask:0xf bank_mask:0xf// 0000000023D4: 160808FA FF004E04
	s_nop 1                                                    // 0000000023DC: BF800001
	v_max_f32_dpp v4, v4, v4 row_shr:4 row_mask:0xf bank_mask:0xf// 0000000023E0: 160808FA FF011404
	s_nop 1                                                    // 0000000023E8: BF800001
	v_max_f32_dpp v4, v4, v4 row_shr:8 row_mask:0xf bank_mask:0xf// 0000000023EC: 160808FA FF011804
	s_nop 1                                                    // 0000000023F4: BF800001
	v_max_f32_dpp v4, v4, v4 row_bcast:15 row_mask:0xf bank_mask:0xf// 0000000023F8: 160808FA FF014204
	s_nop 1                                                    // 000000002400: BF800001
	v_max_f32_dpp v4, v4, v4 row_bcast:31 row_mask:0xf bank_mask:0xf// 000000002404: 160808FA FF014304
	s_nop 0                                                    // 00000000240C: BF800000
	v_readlane_b32 s20, v4, 63                                 // 000000002410: D2890014 00017F04
	v_mov_b32_e32 v17, s20                                     // 000000002418: 7E220214
	v_cmp_eq_f32_e64 s[24:25], v17, v11                        // 00000000241C: D0420018 00021711
	v_cmp_eq_f32_e64 s[26:27], v17, v12                        // 000000002424: D042001A 00021911
	s_ff1_i32_b64 s28, s[24:25]                                // 00000000242C: BE9C1118
	s_ff1_i32_b64 s29, s[26:27]                                // 000000002430: BE9D111A
	v_readlane_b32 s20, v17, 0                                 // 000000002434: D2890014 00010111
	v_writelane_b32 v14, s20, 7                                // 00000000243C: D28A000E 00010E14
	s_mov_b32 s22, s28                                         // 000000002444: BE96001C
	s_cmp_eq_u32 s28, -1                                       // 000000002448: BF06C11C
	s_cselect_b32 s21, 1, 0                                    // 00000000244C: 85158081
	s_cbranch_scc0 label_021B                                  // 000000002450: BF840006
	s_add_u32 s39, s21, s39                                    // 000000002454: 80272715
	s_mov_b32 s22, s29                                         // 000000002458: BE96001D
	s_cmp_eq_u32 s29, -1                                       // 00000000245C: BF06C11D
	s_cselect_b32 s21, 1, 0                                    // 000000002460: 85158081
	s_cbranch_scc0 label_021B                                  // 000000002464: BF840001
	s_add_u32 s39, s21, s39                                    // 000000002468: 80272715

000000000000246c <label_021B>:
	s_set_gpr_idx_on s39, gpr_idx(DST)                         // 00000000246C: BF110827
	v_writelane_b32 v11, 0, s22                                // 000000002470: D28A000B 00002C80
	s_set_gpr_idx_off                                          // 000000002478: BF9C0000
	s_mul_i32 s39, 64, s39                                     // 00000000247C: 922727C0
	s_add_u32 s39, s22, s39                                    // 000000002480: 80272716
	v_writelane_b32 v13, s39, 7                                // 000000002484: D28A000D 00010E27
	s_bfm_b64 exec, s18, 0                                     // 00000000248C: 91FE8012
	buffer_store_dword v13, v9, s[4:7], 0 offen                // 000000002490: E0701000 80010D09
	buffer_store_dword v14, v10, s[8:11], 0 offen              // 000000002498: E0701000 80020E0A
	s_branch label_03D1                                        // 0000000024A0: BF8201A8

00000000000024a4 <label_0229>:
	v_max_f32_e32 v17, v11, v12                                // 0000000024A4: 1622190B
	s_nop 1                                                    // 0000000024A8: BF800001
	v_max_f32_dpp v4, v17, v17 quad_perm:[1,0,3,2] row_mask:0xf bank_mask:0xf// 0000000024AC: 160822FA FF00B111
	s_nop 1                                                    // 0000000024B4: BF800001
	v_max_f32_dpp v4, v4, v4 quad_perm:[2,3,0,1] row_mask:0xf bank_mask:0xf// 0000000024B8: 160808FA FF004E04
	s_nop 1                                                    // 0000000024C0: BF800001
	v_max_f32_dpp v4, v4, v4 row_shr:4 row_mask:0xf bank_mask:0xf// 0000000024C4: 160808FA FF011404
	s_nop 1                                                    // 0000000024CC: BF800001
	v_max_f32_dpp v4, v4, v4 row_shr:8 row_mask:0xf bank_mask:0xf// 0000000024D0: 160808FA FF011804
	s_nop 1                                                    // 0000000024D8: BF800001
	v_max_f32_dpp v4, v4, v4 row_bcast:15 row_mask:0xf bank_mask:0xf// 0000000024DC: 160808FA FF014204
	s_nop 1                                                    // 0000000024E4: BF800001
	v_max_f32_dpp v4, v4, v4 row_bcast:31 row_mask:0xf bank_mask:0xf// 0000000024E8: 160808FA FF014304
	s_nop 0                                                    // 0000000024F0: BF800000
	v_readlane_b32 s20, v4, 63                                 // 0000000024F4: D2890014 00017F04
	v_mov_b32_e32 v17, s20                                     // 0000000024FC: 7E220214
	v_add_f32_e32 v19, v19, v17                                // 000000002500: 02262313
	v_cmp_eq_f32_e64 s[24:25], v17, v11                        // 000000002504: D0420018 00021711
	v_cmp_eq_f32_e64 s[26:27], v17, v12                        // 00000000250C: D042001A 00021911
	s_ff1_i32_b64 s28, s[24:25]                                // 000000002514: BE9C1118
	s_ff1_i32_b64 s29, s[26:27]                                // 000000002518: BE9D111A
	v_readlane_b32 s20, v17, 0                                 // 00000000251C: D2890014 00010111
	v_writelane_b32 v14, s20, 0                                // 000000002524: D28A000E 00010014
	s_mov_b32 s22, s28                                         // 00000000252C: BE96001C
	s_cmp_eq_u32 s28, -1                                       // 000000002530: BF06C11C
	s_cselect_b32 s21, 1, 0                                    // 000000002534: 85158081
	s_cbranch_scc0 label_0255                                  // 000000002538: BF840006
	s_add_u32 s32, s21, s32                                    // 00000000253C: 80202015
	s_mov_b32 s22, s29                                         // 000000002540: BE96001D
	s_cmp_eq_u32 s29, -1                                       // 000000002544: BF06C11D
	s_cselect_b32 s21, 1, 0                                    // 000000002548: 85158081
	s_cbranch_scc0 label_0255                                  // 00000000254C: BF840001
	s_add_u32 s32, s21, s32                                    // 000000002550: 80202015

0000000000002554 <label_0255>:
	s_set_gpr_idx_on s32, gpr_idx(DST)                         // 000000002554: BF110820
	v_writelane_b32 v11, 0, s22                                // 000000002558: D28A000B 00002C80
	s_set_gpr_idx_off                                          // 000000002560: BF9C0000
	s_mul_i32 s32, 64, s32                                     // 000000002564: 922020C0
	s_add_u32 s32, s22, s32                                    // 000000002568: 80202016
	v_writelane_b32 v13, s32, 0                                // 00000000256C: D28A000D 00010020
	v_max_f32_e32 v17, v11, v12                                // 000000002574: 1622190B
	s_nop 1                                                    // 000000002578: BF800001
	v_max_f32_dpp v4, v17, v17 quad_perm:[1,0,3,2] row_mask:0xf bank_mask:0xf// 00000000257C: 160822FA FF00B111
	s_nop 1                                                    // 000000002584: BF800001
	v_max_f32_dpp v4, v4, v4 quad_perm:[2,3,0,1] row_mask:0xf bank_mask:0xf// 000000002588: 160808FA FF004E04
	s_nop 1                                                    // 000000002590: BF800001
	v_max_f32_dpp v4, v4, v4 row_shr:4 row_mask:0xf bank_mask:0xf// 000000002594: 160808FA FF011404
	s_nop 1                                                    // 00000000259C: BF800001
	v_max_f32_dpp v4, v4, v4 row_shr:8 row_mask:0xf bank_mask:0xf// 0000000025A0: 160808FA FF011804
	s_nop 1                                                    // 0000000025A8: BF800001
	v_max_f32_dpp v4, v4, v4 row_bcast:15 row_mask:0xf bank_mask:0xf// 0000000025AC: 160808FA FF014204
	s_nop 1                                                    // 0000000025B4: BF800001
	v_max_f32_dpp v4, v4, v4 row_bcast:31 row_mask:0xf bank_mask:0xf// 0000000025B8: 160808FA FF014304
	s_nop 0                                                    // 0000000025C0: BF800000
	v_readlane_b32 s20, v4, 63                                 // 0000000025C4: D2890014 00017F04
	v_mov_b32_e32 v17, s20                                     // 0000000025CC: 7E220214
	v_add_f32_e32 v19, v19, v17                                // 0000000025D0: 02262313
	v_cmp_eq_f32_e64 s[24:25], v17, v11                        // 0000000025D4: D0420018 00021711
	v_cmp_eq_f32_e64 s[26:27], v17, v12                        // 0000000025DC: D042001A 00021911
	s_ff1_i32_b64 s28, s[24:25]                                // 0000000025E4: BE9C1118
	s_ff1_i32_b64 s29, s[26:27]                                // 0000000025E8: BE9D111A
	v_readlane_b32 s20, v17, 0                                 // 0000000025EC: D2890014 00010111
	v_writelane_b32 v14, s20, 1                                // 0000000025F4: D28A000E 00010214
	s_mov_b32 s22, s28                                         // 0000000025FC: BE96001C
	s_cmp_eq_u32 s28, -1                                       // 000000002600: BF06C11C
	s_cselect_b32 s21, 1, 0                                    // 000000002604: 85158081
	s_cbranch_scc0 label_0289                                  // 000000002608: BF840006
	s_add_u32 s33, s21, s33                                    // 00000000260C: 80212115
	s_mov_b32 s22, s29                                         // 000000002610: BE96001D
	s_cmp_eq_u32 s29, -1                                       // 000000002614: BF06C11D
	s_cselect_b32 s21, 1, 0                                    // 000000002618: 85158081
	s_cbranch_scc0 label_0289                                  // 00000000261C: BF840001
	s_add_u32 s33, s21, s33                                    // 000000002620: 80212115

0000000000002624 <label_0289>:
	s_set_gpr_idx_on s33, gpr_idx(DST)                         // 000000002624: BF110821
	v_writelane_b32 v11, 0, s22                                // 000000002628: D28A000B 00002C80
	s_set_gpr_idx_off                                          // 000000002630: BF9C0000
	s_mul_i32 s33, 64, s33                                     // 000000002634: 922121C0
	s_add_u32 s33, s22, s33                                    // 000000002638: 80212116
	v_writelane_b32 v13, s33, 1                                // 00000000263C: D28A000D 00010221
	v_max_f32_e32 v17, v11, v12                                // 000000002644: 1622190B
	s_nop 1                                                    // 000000002648: BF800001
	v_max_f32_dpp v4, v17, v17 quad_perm:[1,0,3,2] row_mask:0xf bank_mask:0xf// 00000000264C: 160822FA FF00B111
	s_nop 1                                                    // 000000002654: BF800001
	v_max_f32_dpp v4, v4, v4 quad_perm:[2,3,0,1] row_mask:0xf bank_mask:0xf// 000000002658: 160808FA FF004E04
	s_nop 1                                                    // 000000002660: BF800001
	v_max_f32_dpp v4, v4, v4 row_shr:4 row_mask:0xf bank_mask:0xf// 000000002664: 160808FA FF011404
	s_nop 1                                                    // 00000000266C: BF800001
	v_max_f32_dpp v4, v4, v4 row_shr:8 row_mask:0xf bank_mask:0xf// 000000002670: 160808FA FF011804
	s_nop 1                                                    // 000000002678: BF800001
	v_max_f32_dpp v4, v4, v4 row_bcast:15 row_mask:0xf bank_mask:0xf// 00000000267C: 160808FA FF014204
	s_nop 1                                                    // 000000002684: BF800001
	v_max_f32_dpp v4, v4, v4 row_bcast:31 row_mask:0xf bank_mask:0xf// 000000002688: 160808FA FF014304
	s_nop 0                                                    // 000000002690: BF800000
	v_readlane_b32 s20, v4, 63                                 // 000000002694: D2890014 00017F04
	v_mov_b32_e32 v17, s20                                     // 00000000269C: 7E220214
	v_add_f32_e32 v19, v19, v17                                // 0000000026A0: 02262313
	v_cmp_eq_f32_e64 s[24:25], v17, v11                        // 0000000026A4: D0420018 00021711
	v_cmp_eq_f32_e64 s[26:27], v17, v12                        // 0000000026AC: D042001A 00021911
	s_ff1_i32_b64 s28, s[24:25]                                // 0000000026B4: BE9C1118
	s_ff1_i32_b64 s29, s[26:27]                                // 0000000026B8: BE9D111A
	v_readlane_b32 s20, v17, 0                                 // 0000000026BC: D2890014 00010111
	v_writelane_b32 v14, s20, 2                                // 0000000026C4: D28A000E 00010414
	s_mov_b32 s22, s28                                         // 0000000026CC: BE96001C
	s_cmp_eq_u32 s28, -1                                       // 0000000026D0: BF06C11C
	s_cselect_b32 s21, 1, 0                                    // 0000000026D4: 85158081
	s_cbranch_scc0 label_02BD                                  // 0000000026D8: BF840006
	s_add_u32 s34, s21, s34                                    // 0000000026DC: 80222215
	s_mov_b32 s22, s29                                         // 0000000026E0: BE96001D
	s_cmp_eq_u32 s29, -1                                       // 0000000026E4: BF06C11D
	s_cselect_b32 s21, 1, 0                                    // 0000000026E8: 85158081
	s_cbranch_scc0 label_02BD                                  // 0000000026EC: BF840001
	s_add_u32 s34, s21, s34                                    // 0000000026F0: 80222215

00000000000026f4 <label_02BD>:
	s_set_gpr_idx_on s34, gpr_idx(DST)                         // 0000000026F4: BF110822
	v_writelane_b32 v11, 0, s22                                // 0000000026F8: D28A000B 00002C80
	s_set_gpr_idx_off                                          // 000000002700: BF9C0000
	s_mul_i32 s34, 64, s34                                     // 000000002704: 922222C0
	s_add_u32 s34, s22, s34                                    // 000000002708: 80222216
	v_writelane_b32 v13, s34, 2                                // 00000000270C: D28A000D 00010422
	v_max_f32_e32 v17, v11, v12                                // 000000002714: 1622190B
	s_nop 1                                                    // 000000002718: BF800001
	v_max_f32_dpp v4, v17, v17 quad_perm:[1,0,3,2] row_mask:0xf bank_mask:0xf// 00000000271C: 160822FA FF00B111
	s_nop 1                                                    // 000000002724: BF800001
	v_max_f32_dpp v4, v4, v4 quad_perm:[2,3,0,1] row_mask:0xf bank_mask:0xf// 000000002728: 160808FA FF004E04
	s_nop 1                                                    // 000000002730: BF800001
	v_max_f32_dpp v4, v4, v4 row_shr:4 row_mask:0xf bank_mask:0xf// 000000002734: 160808FA FF011404
	s_nop 1                                                    // 00000000273C: BF800001
	v_max_f32_dpp v4, v4, v4 row_shr:8 row_mask:0xf bank_mask:0xf// 000000002740: 160808FA FF011804
	s_nop 1                                                    // 000000002748: BF800001
	v_max_f32_dpp v4, v4, v4 row_bcast:15 row_mask:0xf bank_mask:0xf// 00000000274C: 160808FA FF014204
	s_nop 1                                                    // 000000002754: BF800001
	v_max_f32_dpp v4, v4, v4 row_bcast:31 row_mask:0xf bank_mask:0xf// 000000002758: 160808FA FF014304
	s_nop 0                                                    // 000000002760: BF800000
	v_readlane_b32 s20, v4, 63                                 // 000000002764: D2890014 00017F04
	v_mov_b32_e32 v17, s20                                     // 00000000276C: 7E220214
	v_add_f32_e32 v19, v19, v17                                // 000000002770: 02262313
	v_cmp_eq_f32_e64 s[24:25], v17, v11                        // 000000002774: D0420018 00021711
	v_cmp_eq_f32_e64 s[26:27], v17, v12                        // 00000000277C: D042001A 00021911
	s_ff1_i32_b64 s28, s[24:25]                                // 000000002784: BE9C1118
	s_ff1_i32_b64 s29, s[26:27]                                // 000000002788: BE9D111A
	v_readlane_b32 s20, v17, 0                                 // 00000000278C: D2890014 00010111
	v_writelane_b32 v14, s20, 3                                // 000000002794: D28A000E 00010614
	s_mov_b32 s22, s28                                         // 00000000279C: BE96001C
	s_cmp_eq_u32 s28, -1                                       // 0000000027A0: BF06C11C
	s_cselect_b32 s21, 1, 0                                    // 0000000027A4: 85158081
	s_cbranch_scc0 label_02F1                                  // 0000000027A8: BF840006
	s_add_u32 s35, s21, s35                                    // 0000000027AC: 80232315
	s_mov_b32 s22, s29                                         // 0000000027B0: BE96001D
	s_cmp_eq_u32 s29, -1                                       // 0000000027B4: BF06C11D
	s_cselect_b32 s21, 1, 0                                    // 0000000027B8: 85158081
	s_cbranch_scc0 label_02F1                                  // 0000000027BC: BF840001
	s_add_u32 s35, s21, s35                                    // 0000000027C0: 80232315

00000000000027c4 <label_02F1>:
	s_set_gpr_idx_on s35, gpr_idx(DST)                         // 0000000027C4: BF110823
	v_writelane_b32 v11, 0, s22                                // 0000000027C8: D28A000B 00002C80
	s_set_gpr_idx_off                                          // 0000000027D0: BF9C0000
	s_mul_i32 s35, 64, s35                                     // 0000000027D4: 922323C0
	s_add_u32 s35, s22, s35                                    // 0000000027D8: 80232316
	v_writelane_b32 v13, s35, 3                                // 0000000027DC: D28A000D 00010623
	v_max_f32_e32 v17, v11, v12                                // 0000000027E4: 1622190B
	s_nop 1                                                    // 0000000027E8: BF800001
	v_max_f32_dpp v4, v17, v17 quad_perm:[1,0,3,2] row_mask:0xf bank_mask:0xf// 0000000027EC: 160822FA FF00B111
	s_nop 1                                                    // 0000000027F4: BF800001
	v_max_f32_dpp v4, v4, v4 quad_perm:[2,3,0,1] row_mask:0xf bank_mask:0xf// 0000000027F8: 160808FA FF004E04
	s_nop 1                                                    // 000000002800: BF800001
	v_max_f32_dpp v4, v4, v4 row_shr:4 row_mask:0xf bank_mask:0xf// 000000002804: 160808FA FF011404
	s_nop 1                                                    // 00000000280C: BF800001
	v_max_f32_dpp v4, v4, v4 row_shr:8 row_mask:0xf bank_mask:0xf// 000000002810: 160808FA FF011804
	s_nop 1                                                    // 000000002818: BF800001
	v_max_f32_dpp v4, v4, v4 row_bcast:15 row_mask:0xf bank_mask:0xf// 00000000281C: 160808FA FF014204
	s_nop 1                                                    // 000000002824: BF800001
	v_max_f32_dpp v4, v4, v4 row_bcast:31 row_mask:0xf bank_mask:0xf// 000000002828: 160808FA FF014304
	s_nop 0                                                    // 000000002830: BF800000
	v_readlane_b32 s20, v4, 63                                 // 000000002834: D2890014 00017F04
	v_mov_b32_e32 v17, s20                                     // 00000000283C: 7E220214
	v_add_f32_e32 v19, v19, v17                                // 000000002840: 02262313
	v_cmp_eq_f32_e64 s[24:25], v17, v11                        // 000000002844: D0420018 00021711
	v_cmp_eq_f32_e64 s[26:27], v17, v12                        // 00000000284C: D042001A 00021911
	s_ff1_i32_b64 s28, s[24:25]                                // 000000002854: BE9C1118
	s_ff1_i32_b64 s29, s[26:27]                                // 000000002858: BE9D111A
	v_readlane_b32 s20, v17, 0                                 // 00000000285C: D2890014 00010111
	v_writelane_b32 v14, s20, 4                                // 000000002864: D28A000E 00010814
	s_mov_b32 s22, s28                                         // 00000000286C: BE96001C
	s_cmp_eq_u32 s28, -1                                       // 000000002870: BF06C11C
	s_cselect_b32 s21, 1, 0                                    // 000000002874: 85158081
	s_cbranch_scc0 label_0325                                  // 000000002878: BF840006
	s_add_u32 s36, s21, s36                                    // 00000000287C: 80242415
	s_mov_b32 s22, s29                                         // 000000002880: BE96001D
	s_cmp_eq_u32 s29, -1                                       // 000000002884: BF06C11D
	s_cselect_b32 s21, 1, 0                                    // 000000002888: 85158081
	s_cbranch_scc0 label_0325                                  // 00000000288C: BF840001
	s_add_u32 s36, s21, s36                                    // 000000002890: 80242415

0000000000002894 <label_0325>:
	s_set_gpr_idx_on s36, gpr_idx(DST)                         // 000000002894: BF110824
	v_writelane_b32 v11, 0, s22                                // 000000002898: D28A000B 00002C80
	s_set_gpr_idx_off                                          // 0000000028A0: BF9C0000
	s_mul_i32 s36, 64, s36                                     // 0000000028A4: 922424C0
	s_add_u32 s36, s22, s36                                    // 0000000028A8: 80242416
	v_writelane_b32 v13, s36, 4                                // 0000000028AC: D28A000D 00010824
	v_max_f32_e32 v17, v11, v12                                // 0000000028B4: 1622190B
	s_nop 1                                                    // 0000000028B8: BF800001
	v_max_f32_dpp v4, v17, v17 quad_perm:[1,0,3,2] row_mask:0xf bank_mask:0xf// 0000000028BC: 160822FA FF00B111
	s_nop 1                                                    // 0000000028C4: BF800001
	v_max_f32_dpp v4, v4, v4 quad_perm:[2,3,0,1] row_mask:0xf bank_mask:0xf// 0000000028C8: 160808FA FF004E04
	s_nop 1                                                    // 0000000028D0: BF800001
	v_max_f32_dpp v4, v4, v4 row_shr:4 row_mask:0xf bank_mask:0xf// 0000000028D4: 160808FA FF011404
	s_nop 1                                                    // 0000000028DC: BF800001
	v_max_f32_dpp v4, v4, v4 row_shr:8 row_mask:0xf bank_mask:0xf// 0000000028E0: 160808FA FF011804
	s_nop 1                                                    // 0000000028E8: BF800001
	v_max_f32_dpp v4, v4, v4 row_bcast:15 row_mask:0xf bank_mask:0xf// 0000000028EC: 160808FA FF014204
	s_nop 1                                                    // 0000000028F4: BF800001
	v_max_f32_dpp v4, v4, v4 row_bcast:31 row_mask:0xf bank_mask:0xf// 0000000028F8: 160808FA FF014304
	s_nop 0                                                    // 000000002900: BF800000
	v_readlane_b32 s20, v4, 63                                 // 000000002904: D2890014 00017F04
	v_mov_b32_e32 v17, s20                                     // 00000000290C: 7E220214
	v_add_f32_e32 v19, v19, v17                                // 000000002910: 02262313
	v_cmp_eq_f32_e64 s[24:25], v17, v11                        // 000000002914: D0420018 00021711
	v_cmp_eq_f32_e64 s[26:27], v17, v12                        // 00000000291C: D042001A 00021911
	s_ff1_i32_b64 s28, s[24:25]                                // 000000002924: BE9C1118
	s_ff1_i32_b64 s29, s[26:27]                                // 000000002928: BE9D111A
	v_readlane_b32 s20, v17, 0                                 // 00000000292C: D2890014 00010111
	v_writelane_b32 v14, s20, 5                                // 000000002934: D28A000E 00010A14
	s_mov_b32 s22, s28                                         // 00000000293C: BE96001C
	s_cmp_eq_u32 s28, -1                                       // 000000002940: BF06C11C
	s_cselect_b32 s21, 1, 0                                    // 000000002944: 85158081
	s_cbranch_scc0 label_0359                                  // 000000002948: BF840006
	s_add_u32 s37, s21, s37                                    // 00000000294C: 80252515
	s_mov_b32 s22, s29                                         // 000000002950: BE96001D
	s_cmp_eq_u32 s29, -1                                       // 000000002954: BF06C11D
	s_cselect_b32 s21, 1, 0                                    // 000000002958: 85158081
	s_cbranch_scc0 label_0359                                  // 00000000295C: BF840001
	s_add_u32 s37, s21, s37                                    // 000000002960: 80252515

0000000000002964 <label_0359>:
	s_set_gpr_idx_on s37, gpr_idx(DST)                         // 000000002964: BF110825
	v_writelane_b32 v11, 0, s22                                // 000000002968: D28A000B 00002C80
	s_set_gpr_idx_off                                          // 000000002970: BF9C0000
	s_mul_i32 s37, 64, s37                                     // 000000002974: 922525C0
	s_add_u32 s37, s22, s37                                    // 000000002978: 80252516
	v_writelane_b32 v13, s37, 5                                // 00000000297C: D28A000D 00010A25
	v_max_f32_e32 v17, v11, v12                                // 000000002984: 1622190B
	s_nop 1                                                    // 000000002988: BF800001
	v_max_f32_dpp v4, v17, v17 quad_perm:[1,0,3,2] row_mask:0xf bank_mask:0xf// 00000000298C: 160822FA FF00B111
	s_nop 1                                                    // 000000002994: BF800001
	v_max_f32_dpp v4, v4, v4 quad_perm:[2,3,0,1] row_mask:0xf bank_mask:0xf// 000000002998: 160808FA FF004E04
	s_nop 1                                                    // 0000000029A0: BF800001
	v_max_f32_dpp v4, v4, v4 row_shr:4 row_mask:0xf bank_mask:0xf// 0000000029A4: 160808FA FF011404
	s_nop 1                                                    // 0000000029AC: BF800001
	v_max_f32_dpp v4, v4, v4 row_shr:8 row_mask:0xf bank_mask:0xf// 0000000029B0: 160808FA FF011804
	s_nop 1                                                    // 0000000029B8: BF800001
	v_max_f32_dpp v4, v4, v4 row_bcast:15 row_mask:0xf bank_mask:0xf// 0000000029BC: 160808FA FF014204
	s_nop 1                                                    // 0000000029C4: BF800001
	v_max_f32_dpp v4, v4, v4 row_bcast:31 row_mask:0xf bank_mask:0xf// 0000000029C8: 160808FA FF014304
	s_nop 0                                                    // 0000000029D0: BF800000
	v_readlane_b32 s20, v4, 63                                 // 0000000029D4: D2890014 00017F04
	v_mov_b32_e32 v17, s20                                     // 0000000029DC: 7E220214
	v_add_f32_e32 v19, v19, v17                                // 0000000029E0: 02262313
	v_cmp_eq_f32_e64 s[24:25], v17, v11                        // 0000000029E4: D0420018 00021711
	v_cmp_eq_f32_e64 s[26:27], v17, v12                        // 0000000029EC: D042001A 00021911
	s_ff1_i32_b64 s28, s[24:25]                                // 0000000029F4: BE9C1118
	s_ff1_i32_b64 s29, s[26:27]                                // 0000000029F8: BE9D111A
	v_readlane_b32 s20, v17, 0                                 // 0000000029FC: D2890014 00010111
	v_writelane_b32 v14, s20, 6                                // 000000002A04: D28A000E 00010C14
	s_mov_b32 s22, s28                                         // 000000002A0C: BE96001C
	s_cmp_eq_u32 s28, -1                                       // 000000002A10: BF06C11C
	s_cselect_b32 s21, 1, 0                                    // 000000002A14: 85158081
	s_cbranch_scc0 label_038D                                  // 000000002A18: BF840006
	s_add_u32 s38, s21, s38                                    // 000000002A1C: 80262615
	s_mov_b32 s22, s29                                         // 000000002A20: BE96001D
	s_cmp_eq_u32 s29, -1                                       // 000000002A24: BF06C11D
	s_cselect_b32 s21, 1, 0                                    // 000000002A28: 85158081
	s_cbranch_scc0 label_038D                                  // 000000002A2C: BF840001
	s_add_u32 s38, s21, s38                                    // 000000002A30: 80262615

0000000000002a34 <label_038D>:
	s_set_gpr_idx_on s38, gpr_idx(DST)                         // 000000002A34: BF110826
	v_writelane_b32 v11, 0, s22                                // 000000002A38: D28A000B 00002C80
	s_set_gpr_idx_off                                          // 000000002A40: BF9C0000
	s_mul_i32 s38, 64, s38                                     // 000000002A44: 922626C0
	s_add_u32 s38, s22, s38                                    // 000000002A48: 80262616
	v_writelane_b32 v13, s38, 6                                // 000000002A4C: D28A000D 00010C26
	v_max_f32_e32 v17, v11, v12                                // 000000002A54: 1622190B
	s_nop 1                                                    // 000000002A58: BF800001
	v_max_f32_dpp v4, v17, v17 quad_perm:[1,0,3,2] row_mask:0xf bank_mask:0xf// 000000002A5C: 160822FA FF00B111
	s_nop 1                                                    // 000000002A64: BF800001
	v_max_f32_dpp v4, v4, v4 quad_perm:[2,3,0,1] row_mask:0xf bank_mask:0xf// 000000002A68: 160808FA FF004E04
	s_nop 1                                                    // 000000002A70: BF800001
	v_max_f32_dpp v4, v4, v4 row_shr:4 row_mask:0xf bank_mask:0xf// 000000002A74: 160808FA FF011404
	s_nop 1                                                    // 000000002A7C: BF800001
	v_max_f32_dpp v4, v4, v4 row_shr:8 row_mask:0xf bank_mask:0xf// 000000002A80: 160808FA FF011804
	s_nop 1                                                    // 000000002A88: BF800001
	v_max_f32_dpp v4, v4, v4 row_bcast:15 row_mask:0xf bank_mask:0xf// 000000002A8C: 160808FA FF014204
	s_nop 1                                                    // 000000002A94: BF800001
	v_max_f32_dpp v4, v4, v4 row_bcast:31 row_mask:0xf bank_mask:0xf// 000000002A98: 160808FA FF014304
	s_nop 0                                                    // 000000002AA0: BF800000
	v_readlane_b32 s20, v4, 63                                 // 000000002AA4: D2890014 00017F04
	v_mov_b32_e32 v17, s20                                     // 000000002AAC: 7E220214
	v_add_f32_e32 v19, v19, v17                                // 000000002AB0: 02262313
	v_cmp_eq_f32_e64 s[24:25], v17, v11                        // 000000002AB4: D0420018 00021711
	v_cmp_eq_f32_e64 s[26:27], v17, v12                        // 000000002ABC: D042001A 00021911
	s_ff1_i32_b64 s28, s[24:25]                                // 000000002AC4: BE9C1118
	s_ff1_i32_b64 s29, s[26:27]                                // 000000002AC8: BE9D111A
	v_readlane_b32 s20, v17, 0                                 // 000000002ACC: D2890014 00010111
	v_writelane_b32 v14, s20, 7                                // 000000002AD4: D28A000E 00010E14
	s_mov_b32 s22, s28                                         // 000000002ADC: BE96001C
	s_cmp_eq_u32 s28, -1                                       // 000000002AE0: BF06C11C
	s_cselect_b32 s21, 1, 0                                    // 000000002AE4: 85158081
	s_cbranch_scc0 label_03C1                                  // 000000002AE8: BF840006
	s_add_u32 s39, s21, s39                                    // 000000002AEC: 80272715
	s_mov_b32 s22, s29                                         // 000000002AF0: BE96001D
	s_cmp_eq_u32 s29, -1                                       // 000000002AF4: BF06C11D
	s_cselect_b32 s21, 1, 0                                    // 000000002AF8: 85158081
	s_cbranch_scc0 label_03C1                                  // 000000002AFC: BF840001
	s_add_u32 s39, s21, s39                                    // 000000002B00: 80272715

0000000000002b04 <label_03C1>:
	s_set_gpr_idx_on s39, gpr_idx(DST)                         // 000000002B04: BF110827
	v_writelane_b32 v11, 0, s22                                // 000000002B08: D28A000B 00002C80
	s_set_gpr_idx_off                                          // 000000002B10: BF9C0000
	s_mul_i32 s39, 64, s39                                     // 000000002B14: 922727C0
	s_add_u32 s39, s22, s39                                    // 000000002B18: 80272716
	v_writelane_b32 v13, s39, 7                                // 000000002B1C: D28A000D 00010E27
	s_bfm_b64 exec, s18, 0                                     // 000000002B24: 91FE8012
	buffer_store_dword v13, v9, s[4:7], 0 offen                // 000000002B28: E0701000 80010D09
	v_rcp_f32_e32 v19, v19                                     // 000000002B30: 7E264513
	s_nop 0                                                    // 000000002B34: BF800000
	v_mul_f32_e32 v14, v14, v19                                // 000000002B38: 0A1C270E
	buffer_store_dword v14, v10, s[8:11], 0 offen              // 000000002B3C: E0701000 80020E0A

0000000000002b44 <label_03D1>:
	s_waitcnt vmcnt(0) expcnt(0) lgkmcnt(0)                    // 000000002B44: BF8C0000
	s_endpgm                                                   // 000000002B48: BF810000
